;; amdgpu-corpus repo=ROCm/rocFFT kind=compiled arch=gfx1030 opt=O3
	.text
	.amdgcn_target "amdgcn-amd-amdhsa--gfx1030"
	.amdhsa_code_object_version 6
	.protected	bluestein_single_back_len770_dim1_dp_op_CI_CI ; -- Begin function bluestein_single_back_len770_dim1_dp_op_CI_CI
	.globl	bluestein_single_back_len770_dim1_dp_op_CI_CI
	.p2align	8
	.type	bluestein_single_back_len770_dim1_dp_op_CI_CI,@function
bluestein_single_back_len770_dim1_dp_op_CI_CI: ; @bluestein_single_back_len770_dim1_dp_op_CI_CI
; %bb.0:
	s_load_dwordx4 s[0:3], s[4:5], 0x28
	v_mul_u32_u24_e32 v1, 0x254, v0
	v_mov_b32_e32 v105, 0
	v_lshrrev_b32_e32 v1, 16, v1
	v_lshl_add_u32 v104, s6, 1, v1
	s_waitcnt lgkmcnt(0)
	v_cmp_gt_u64_e32 vcc_lo, s[0:1], v[104:105]
	s_and_saveexec_b32 s0, vcc_lo
	s_cbranch_execz .LBB0_23
; %bb.1:
	v_mul_lo_u16 v2, 0x6e, v1
	s_clause 0x1
	s_load_dwordx2 s[14:15], s[4:5], 0x0
	s_load_dwordx2 s[12:13], s[4:5], 0x38
	v_and_b32_e32 v1, 1, v1
	v_sub_nc_u16 v0, v0, v2
	v_cmp_eq_u32_e32 vcc_lo, 1, v1
	v_and_b32_e32 v149, 0xffff, v0
	v_cndmask_b32_e64 v156, 0, 0x302, vcc_lo
	v_cmp_gt_u16_e32 vcc_lo, 0x46, v0
	v_lshlrev_b32_e32 v150, 4, v149
	v_lshlrev_b32_e32 v151, 4, v156
	s_and_saveexec_b32 s1, vcc_lo
	s_cbranch_execz .LBB0_3
; %bb.2:
	s_load_dwordx2 s[6:7], s[4:5], 0x18
	s_waitcnt lgkmcnt(0)
	v_add_co_u32 v18, s0, s14, v150
	v_add_co_ci_u32_e64 v19, null, s15, 0, s0
	s_clause 0x1
	global_load_dwordx4 v[0:3], v150, s[14:15]
	global_load_dwordx4 v[4:7], v150, s[14:15] offset:1120
	v_add_co_u32 v12, s0, 0x800, v18
	v_add_co_ci_u32_e64 v13, s0, 0, v19, s0
	v_add_co_u32 v20, s0, 0x1000, v18
	v_add_co_ci_u32_e64 v21, s0, 0, v19, s0
	;; [unrolled: 2-line block ×3, first 2 shown]
	v_add_co_u32 v72, s0, 0x2000, v18
	s_load_dwordx4 s[8:11], s[6:7], 0x0
	v_add_co_ci_u32_e64 v73, s0, 0, v19, s0
	v_add_co_u32 v80, s0, 0x2800, v18
	v_add_co_ci_u32_e64 v81, s0, 0, v19, s0
	s_waitcnt lgkmcnt(0)
	v_mad_u64_u32 v[16:17], null, s8, v149, 0
	v_mad_u64_u32 v[8:9], null, s10, v104, 0
	s_mul_i32 s6, s9, 0x460
	s_mul_hi_u32 s7, s8, 0x460
	s_add_i32 s7, s7, s6
	v_mov_b32_e32 v10, v17
	v_mad_u64_u32 v[14:15], null, s11, v104, v[9:10]
	v_mad_u64_u32 v[10:11], null, s9, v149, v[10:11]
	v_mov_b32_e32 v9, v14
	v_mov_b32_e32 v17, v10
	v_lshlrev_b64 v[18:19], 4, v[8:9]
	s_clause 0x1
	global_load_dwordx4 v[8:11], v[12:13], off offset:192
	global_load_dwordx4 v[12:15], v[12:13], off offset:1312
	v_lshlrev_b64 v[16:17], 4, v[16:17]
	v_add_co_u32 v18, s0, s2, v18
	v_add_co_ci_u32_e64 v19, s0, s3, v19, s0
	s_mul_i32 s2, s8, 0x460
	v_add_co_u32 v32, s0, v18, v16
	v_add_co_ci_u32_e64 v33, s0, v19, v17, s0
	s_clause 0x1
	global_load_dwordx4 v[16:19], v[20:21], off offset:384
	global_load_dwordx4 v[20:23], v[20:21], off offset:1504
	v_add_co_u32 v36, s0, v32, s2
	v_add_co_ci_u32_e64 v37, s0, s7, v33, s0
	s_clause 0x1
	global_load_dwordx4 v[24:27], v[28:29], off offset:576
	global_load_dwordx4 v[28:31], v[28:29], off offset:1696
	v_add_co_u32 v40, s0, v36, s2
	v_add_co_ci_u32_e64 v41, s0, s7, v37, s0
	s_clause 0x1
	global_load_dwordx4 v[32:35], v[32:33], off
	global_load_dwordx4 v[36:39], v[36:37], off
	v_add_co_u32 v44, s0, v40, s2
	v_add_co_ci_u32_e64 v45, s0, s7, v41, s0
	global_load_dwordx4 v[40:43], v[40:41], off
	v_add_co_u32 v48, s0, v44, s2
	v_add_co_ci_u32_e64 v49, s0, s7, v45, s0
	v_add_co_u32 v52, s0, v48, s2
	v_add_co_ci_u32_e64 v53, s0, s7, v49, s0
	s_clause 0x1
	global_load_dwordx4 v[44:47], v[44:45], off
	global_load_dwordx4 v[48:51], v[48:49], off
	v_add_co_u32 v56, s0, v52, s2
	v_add_co_ci_u32_e64 v57, s0, s7, v53, s0
	global_load_dwordx4 v[52:55], v[52:53], off
	v_add_co_u32 v60, s0, v56, s2
	v_add_co_ci_u32_e64 v61, s0, s7, v57, s0
	;; [unrolled: 3-line block ×5, first 2 shown]
	s_clause 0x1
	global_load_dwordx4 v[68:71], v[72:73], off offset:768
	global_load_dwordx4 v[72:75], v[72:73], off offset:1888
	global_load_dwordx4 v[76:79], v[76:77], off
	global_load_dwordx4 v[80:83], v[80:81], off offset:960
	global_load_dwordx4 v[84:87], v[84:85], off
	s_waitcnt vmcnt(13)
	v_mul_f64 v[88:89], v[34:35], v[2:3]
	v_mul_f64 v[2:3], v[32:33], v[2:3]
	s_waitcnt vmcnt(12)
	v_mul_f64 v[90:91], v[38:39], v[6:7]
	v_mul_f64 v[6:7], v[36:37], v[6:7]
	;; [unrolled: 3-line block ×8, first 2 shown]
	v_fma_f64 v[30:31], v[32:33], v[0:1], v[88:89]
	v_fma_f64 v[32:33], v[34:35], v[0:1], -v[2:3]
	v_fma_f64 v[0:1], v[36:37], v[4:5], v[90:91]
	v_fma_f64 v[2:3], v[38:39], v[4:5], -v[6:7]
	s_waitcnt vmcnt(4)
	v_mul_f64 v[107:108], v[66:67], v[70:71]
	v_mul_f64 v[70:71], v[64:65], v[70:71]
	s_waitcnt vmcnt(2)
	v_mul_f64 v[109:110], v[78:79], v[74:75]
	v_mul_f64 v[74:75], v[76:77], v[74:75]
	;; [unrolled: 3-line block ×3, first 2 shown]
	v_fma_f64 v[4:5], v[40:41], v[8:9], v[92:93]
	v_fma_f64 v[6:7], v[42:43], v[8:9], -v[10:11]
	v_fma_f64 v[8:9], v[44:45], v[12:13], v[94:95]
	v_fma_f64 v[10:11], v[46:47], v[12:13], -v[14:15]
	v_fma_f64 v[12:13], v[48:49], v[16:17], v[96:97]
	v_fma_f64 v[14:15], v[50:51], v[16:17], -v[18:19]
	v_fma_f64 v[16:17], v[52:53], v[20:21], v[98:99]
	v_fma_f64 v[18:19], v[54:55], v[20:21], -v[22:23]
	v_fma_f64 v[20:21], v[56:57], v[24:25], v[100:101]
	v_fma_f64 v[22:23], v[58:59], v[24:25], -v[26:27]
	v_fma_f64 v[24:25], v[60:61], v[28:29], v[102:103]
	v_fma_f64 v[26:27], v[62:63], v[28:29], -v[105:106]
	v_lshl_add_u32 v28, v149, 4, v151
	v_add_nc_u32_e32 v29, v151, v150
	v_fma_f64 v[34:35], v[64:65], v[68:69], v[107:108]
	v_fma_f64 v[36:37], v[66:67], v[68:69], -v[70:71]
	v_fma_f64 v[38:39], v[76:77], v[72:73], v[109:110]
	v_fma_f64 v[40:41], v[78:79], v[72:73], -v[74:75]
	;; [unrolled: 2-line block ×3, first 2 shown]
	ds_write_b128 v28, v[30:33]
	ds_write_b128 v29, v[0:3] offset:1120
	ds_write_b128 v29, v[4:7] offset:2240
	;; [unrolled: 1-line block ×10, first 2 shown]
.LBB0_3:
	s_or_b32 exec_lo, exec_lo, s1
	s_waitcnt lgkmcnt(0)
	s_barrier
	buffer_gl0_inv
                                        ; implicit-def: $vgpr12_vgpr13
                                        ; implicit-def: $vgpr40_vgpr41
                                        ; implicit-def: $vgpr36_vgpr37
                                        ; implicit-def: $vgpr32_vgpr33
                                        ; implicit-def: $vgpr16_vgpr17
                                        ; implicit-def: $vgpr4_vgpr5
                                        ; implicit-def: $vgpr8_vgpr9
                                        ; implicit-def: $vgpr20_vgpr21
                                        ; implicit-def: $vgpr28_vgpr29
                                        ; implicit-def: $vgpr24_vgpr25
                                        ; implicit-def: $vgpr0_vgpr1
	s_and_saveexec_b32 s0, vcc_lo
	s_cbranch_execz .LBB0_5
; %bb.4:
	v_lshl_add_u32 v0, v156, 4, v150
	ds_read_b128 v[12:15], v0
	ds_read_b128 v[40:43], v0 offset:1120
	ds_read_b128 v[36:39], v0 offset:2240
	;; [unrolled: 1-line block ×10, first 2 shown]
.LBB0_5:
	s_or_b32 exec_lo, exec_lo, s0
	s_waitcnt lgkmcnt(9)
	v_add_f64 v[44:45], v[12:13], v[40:41]
	v_add_f64 v[46:47], v[14:15], v[42:43]
	s_waitcnt lgkmcnt(2)
	v_add_f64 v[56:57], v[32:33], v[28:29]
	v_add_f64 v[58:59], v[34:35], v[30:31]
	v_add_f64 v[60:61], v[32:33], -v[28:29]
	v_add_f64 v[62:63], v[34:35], -v[30:31]
	s_waitcnt lgkmcnt(0)
	v_add_f64 v[48:49], v[40:41], v[0:1]
	v_add_f64 v[50:51], v[42:43], v[2:3]
	v_add_f64 v[40:41], v[40:41], -v[0:1]
	v_add_f64 v[42:43], v[42:43], -v[2:3]
	s_mov_b32 s22, 0xf8bb580b
	s_mov_b32 s23, 0xbfe14ced
	v_add_f64 v[52:53], v[36:37], v[24:25]
	v_add_f64 v[54:55], v[38:39], v[26:27]
	s_mov_b32 s0, 0x8764f0ba
	s_mov_b32 s10, 0x43842ef
	;; [unrolled: 1-line block ×8, first 2 shown]
	v_add_f64 v[44:45], v[44:45], v[36:37]
	v_add_f64 v[46:47], v[46:47], v[38:39]
	v_add_f64 v[36:37], v[36:37], -v[24:25]
	v_add_f64 v[38:39], v[38:39], -v[26:27]
	s_mov_b32 s21, 0xbfe82f19
	s_mov_b32 s25, 0xbfd207e7
	;; [unrolled: 1-line block ×8, first 2 shown]
	v_mul_f64 v[68:69], v[42:43], s[8:9]
	v_mul_f64 v[70:71], v[40:41], s[8:9]
	;; [unrolled: 1-line block ×6, first 2 shown]
	s_mov_b32 s2, 0xd9c712b6
	s_mov_b32 s6, 0x640f44db
	;; [unrolled: 1-line block ×4, first 2 shown]
	v_add_f64 v[32:33], v[44:45], v[32:33]
	v_add_f64 v[34:35], v[46:47], v[34:35]
	v_mul_f64 v[44:45], v[42:43], s[22:23]
	v_mul_f64 v[46:47], v[40:41], s[22:23]
	;; [unrolled: 1-line block ×10, first 2 shown]
	s_mov_b32 s3, 0x3fda9628
	s_mov_b32 s7, 0xbfc2375f
	;; [unrolled: 1-line block ×4, first 2 shown]
	v_mul_f64 v[86:87], v[36:37], s[20:21]
	v_mul_f64 v[92:93], v[36:37], s[30:31]
	;; [unrolled: 1-line block ×6, first 2 shown]
	v_add_f64 v[32:33], v[32:33], v[16:17]
	v_add_f64 v[34:35], v[34:35], v[18:19]
	v_fma_f64 v[113:114], v[48:49], s[0:1], -v[44:45]
	v_fma_f64 v[115:116], v[50:51], s[0:1], v[46:47]
	v_fma_f64 v[44:45], v[48:49], s[0:1], v[44:45]
	v_fma_f64 v[46:47], v[50:51], s[0:1], -v[46:47]
	v_fma_f64 v[117:118], v[48:49], s[2:3], -v[68:69]
	v_fma_f64 v[119:120], v[50:51], s[2:3], v[70:71]
	v_fma_f64 v[68:69], v[48:49], s[2:3], v[68:69]
	v_fma_f64 v[70:71], v[50:51], s[2:3], -v[70:71]
	v_fma_f64 v[121:122], v[48:49], s[6:7], -v[72:73]
	v_fma_f64 v[123:124], v[50:51], s[6:7], v[74:75]
	v_fma_f64 v[72:73], v[48:49], s[6:7], v[72:73]
	v_fma_f64 v[74:75], v[50:51], s[6:7], -v[74:75]
	v_fma_f64 v[125:126], v[48:49], s[16:17], -v[76:77]
	v_fma_f64 v[127:128], v[50:51], s[16:17], v[78:79]
	v_fma_f64 v[76:77], v[48:49], s[16:17], v[76:77]
	v_fma_f64 v[78:79], v[50:51], s[16:17], -v[78:79]
	v_fma_f64 v[129:130], v[48:49], s[18:19], -v[42:43]
	v_fma_f64 v[42:43], v[48:49], s[18:19], v[42:43]
	v_fma_f64 v[48:49], v[50:51], s[18:19], v[40:41]
	v_fma_f64 v[40:41], v[50:51], s[18:19], -v[40:41]
	v_add_f64 v[32:33], v[32:33], v[4:5]
	v_add_f64 v[34:35], v[34:35], v[6:7]
	v_fma_f64 v[50:51], v[52:53], s[2:3], -v[80:81]
	v_fma_f64 v[80:81], v[52:53], s[2:3], v[80:81]
	v_fma_f64 v[131:132], v[52:53], s[16:17], -v[84:85]
	v_fma_f64 v[84:85], v[52:53], s[16:17], v[84:85]
	;; [unrolled: 2-line block ×5, first 2 shown]
	v_fma_f64 v[52:53], v[54:55], s[2:3], v[82:83]
	v_add_f64 v[113:114], v[12:13], v[113:114]
	v_add_f64 v[115:116], v[14:15], v[115:116]
	s_mov_b32 s9, 0x3fed1bb4
	v_add_f64 v[64:65], v[16:17], -v[20:21]
	v_add_f64 v[66:67], v[18:19], -v[22:23]
	v_mul_f64 v[105:106], v[62:63], s[22:23]
	v_mul_f64 v[109:110], v[62:63], s[8:9]
	;; [unrolled: 1-line block ×3, first 2 shown]
	v_fma_f64 v[82:83], v[54:55], s[2:3], -v[82:83]
	v_add_f64 v[32:33], v[32:33], v[8:9]
	v_add_f64 v[34:35], v[34:35], v[10:11]
	v_fma_f64 v[139:140], v[54:55], s[16:17], v[86:87]
	v_fma_f64 v[86:87], v[54:55], s[16:17], -v[86:87]
	v_fma_f64 v[141:142], v[54:55], s[18:19], v[92:93]
	v_fma_f64 v[92:93], v[54:55], s[18:19], -v[92:93]
	;; [unrolled: 2-line block ×4, first 2 shown]
	v_fma_f64 v[54:55], v[56:57], s[6:7], -v[96:97]
	v_fma_f64 v[147:148], v[58:59], s[6:7], v[98:99]
	v_add_f64 v[44:45], v[12:13], v[44:45]
	v_add_f64 v[46:47], v[14:15], v[46:47]
	;; [unrolled: 1-line block ×22, first 2 shown]
	v_mul_f64 v[100:101], v[62:63], s[30:31]
	v_mul_f64 v[102:103], v[60:61], s[30:31]
	v_mul_f64 v[107:108], v[60:61], s[22:23]
	v_fma_f64 v[96:97], v[56:57], s[6:7], v[96:97]
	v_fma_f64 v[98:99], v[58:59], s[6:7], -v[98:99]
	v_add_f64 v[50:51], v[84:85], v[68:69]
	v_add_f64 v[52:53], v[86:87], v[70:71]
	;; [unrolled: 1-line block ×17, first 2 shown]
	v_mul_f64 v[40:41], v[62:63], s[20:21]
	v_mul_f64 v[42:43], v[60:61], s[20:21]
	v_fma_f64 v[60:61], v[58:59], s[2:3], -v[111:112]
	v_add_f64 v[18:19], v[18:19], v[22:23]
	v_mul_f64 v[20:21], v[66:67], s[20:21]
	v_mul_f64 v[22:23], v[64:65], s[20:21]
	v_fma_f64 v[62:63], v[56:57], s[0:1], -v[105:106]
	v_fma_f64 v[88:89], v[56:57], s[0:1], v[105:106]
	v_fma_f64 v[152:153], v[56:57], s[18:19], -v[100:101]
	v_fma_f64 v[154:155], v[58:59], s[18:19], v[102:103]
	v_add_f64 v[24:25], v[28:29], v[24:25]
	v_add_f64 v[26:27], v[30:31], v[26:27]
	v_fma_f64 v[28:29], v[56:57], s[2:3], -v[109:110]
	v_fma_f64 v[30:31], v[58:59], s[2:3], v[111:112]
	v_fma_f64 v[100:101], v[56:57], s[18:19], v[100:101]
	v_fma_f64 v[102:103], v[58:59], s[18:19], -v[102:103]
	v_add_f64 v[44:45], v[131:132], v[117:118]
	v_add_f64 v[46:47], v[139:140], v[119:120]
	;; [unrolled: 1-line block ×5, first 2 shown]
	v_fma_f64 v[54:55], v[56:57], s[2:3], v[109:110]
	v_fma_f64 v[86:87], v[58:59], s[0:1], v[107:108]
	v_add_f64 v[32:33], v[96:97], v[32:33]
	v_add_f64 v[34:35], v[98:99], v[34:35]
	v_fma_f64 v[90:91], v[58:59], s[0:1], -v[107:108]
	v_mul_f64 v[92:93], v[66:67], s[28:29]
	v_mul_f64 v[94:95], v[64:65], s[28:29]
	v_add_f64 v[60:61], v[60:61], v[74:75]
	v_add_f64 v[62:63], v[62:63], v[80:81]
	v_mul_f64 v[74:75], v[66:67], s[22:23]
	v_mul_f64 v[80:81], v[64:65], s[22:23]
	v_add_f64 v[76:77], v[88:89], v[76:77]
	v_mul_f64 v[88:89], v[66:67], s[24:25]
	v_add_f64 v[28:29], v[28:29], v[68:69]
	v_add_f64 v[30:31], v[30:31], v[70:71]
	v_fma_f64 v[68:69], v[56:57], s[16:17], -v[40:41]
	v_fma_f64 v[70:71], v[58:59], s[16:17], v[42:43]
	v_fma_f64 v[40:41], v[56:57], s[16:17], v[40:41]
	v_fma_f64 v[42:43], v[58:59], s[16:17], -v[42:43]
	v_fma_f64 v[56:57], v[16:17], s[16:17], -v[20:21]
	v_fma_f64 v[58:59], v[18:19], s[16:17], v[22:23]
	v_fma_f64 v[20:21], v[16:17], s[16:17], v[20:21]
	v_fma_f64 v[22:23], v[18:19], s[16:17], -v[22:23]
	v_add_f64 v[84:85], v[137:138], v[129:130]
	v_add_f64 v[44:45], v[152:153], v[44:45]
	;; [unrolled: 1-line block ×6, first 2 shown]
	v_fma_f64 v[82:83], v[16:17], s[6:7], -v[92:93]
	v_fma_f64 v[86:87], v[18:19], s[6:7], v[94:95]
	v_mul_f64 v[90:91], v[64:65], s[24:25]
	v_mul_f64 v[66:67], v[66:67], s[8:9]
	;; [unrolled: 1-line block ×3, first 2 shown]
	v_add_f64 v[50:51], v[100:101], v[50:51]
	v_add_f64 v[52:53], v[102:103], v[52:53]
	v_fma_f64 v[92:93], v[16:17], s[6:7], v[92:93]
	v_fma_f64 v[94:95], v[18:19], s[6:7], -v[94:95]
	v_add_f64 v[48:49], v[70:71], v[48:49]
	v_add_f64 v[12:13], v[40:41], v[12:13]
	;; [unrolled: 1-line block ×5, first 2 shown]
	v_add_f64 v[40:41], v[6:7], -v[10:11]
	v_add_f64 v[42:43], v[4:5], -v[8:9]
	v_fma_f64 v[56:57], v[16:17], s[0:1], -v[74:75]
	v_fma_f64 v[58:59], v[18:19], s[0:1], v[80:81]
	v_add_f64 v[20:21], v[20:21], v[32:33]
	v_add_f64 v[22:23], v[22:23], v[34:35]
	v_fma_f64 v[32:33], v[16:17], s[0:1], v[74:75]
	v_fma_f64 v[34:35], v[18:19], s[0:1], -v[80:81]
	v_fma_f64 v[70:71], v[16:17], s[18:19], -v[88:89]
	v_add_f64 v[68:69], v[68:69], v[84:85]
	v_add_f64 v[44:45], v[82:83], v[44:45]
	;; [unrolled: 1-line block ×3, first 2 shown]
	v_fma_f64 v[74:75], v[18:19], s[18:19], v[90:91]
	v_fma_f64 v[80:81], v[16:17], s[18:19], v[88:89]
	v_fma_f64 v[82:83], v[18:19], s[18:19], -v[90:91]
	v_fma_f64 v[84:85], v[16:17], s[2:3], -v[66:67]
	v_fma_f64 v[86:87], v[18:19], s[2:3], v[64:65]
	v_fma_f64 v[16:17], v[16:17], s[2:3], v[66:67]
	v_fma_f64 v[18:19], v[18:19], s[2:3], -v[64:65]
	v_add_f64 v[4:5], v[4:5], v[8:9]
	v_add_f64 v[6:7], v[6:7], v[10:11]
	;; [unrolled: 1-line block ×3, first 2 shown]
	v_mul_f64 v[8:9], v[40:41], s[24:25]
	v_mul_f64 v[10:11], v[42:43], s[24:25]
	v_add_f64 v[28:29], v[56:57], v[28:29]
	v_add_f64 v[30:31], v[58:59], v[30:31]
	v_mul_f64 v[56:57], v[40:41], s[26:27]
	v_mul_f64 v[58:59], v[42:43], s[26:27]
	v_add_f64 v[32:33], v[32:33], v[54:55]
	v_add_f64 v[34:35], v[34:35], v[60:61]
	v_mul_f64 v[54:55], v[40:41], s[20:21]
	v_mul_f64 v[60:61], v[42:43], s[20:21]
	v_add_f64 v[70:71], v[70:71], v[62:63]
	v_mul_f64 v[62:63], v[40:41], s[8:9]
	v_mul_f64 v[64:65], v[42:43], s[8:9]
	;; [unrolled: 1-line block ×4, first 2 shown]
	v_add_f64 v[52:53], v[94:95], v[52:53]
	v_add_f64 v[72:73], v[74:75], v[72:73]
	;; [unrolled: 1-line block ×8, first 2 shown]
	v_fma_f64 v[16:17], v[4:5], s[18:19], -v[8:9]
	v_fma_f64 v[18:19], v[6:7], s[18:19], v[10:11]
	v_fma_f64 v[8:9], v[4:5], s[18:19], v[8:9]
	v_fma_f64 v[10:11], v[6:7], s[18:19], -v[10:11]
	v_fma_f64 v[48:49], v[4:5], s[0:1], -v[56:57]
	v_fma_f64 v[66:67], v[6:7], s[0:1], v[58:59]
	v_fma_f64 v[76:77], v[4:5], s[0:1], v[56:57]
	v_fma_f64 v[78:79], v[6:7], s[0:1], -v[58:59]
	;; [unrolled: 4-line block ×5, first 2 shown]
	v_add_f64 v[40:41], v[24:25], v[0:1]
	v_add_f64 v[42:43], v[26:27], v[2:3]
	;; [unrolled: 1-line block ×22, first 2 shown]
	v_mul_lo_u16 v155, v149, 11
	s_barrier
	buffer_gl0_inv
	s_and_saveexec_b32 s0, vcc_lo
	s_cbranch_execz .LBB0_7
; %bb.6:
	v_and_b32_e32 v0, 0xffff, v155
	v_add_lshl_u32 v0, v156, v0, 4
	ds_write_b128 v0, v[40:43]
	ds_write_b128 v0, v[56:59] offset:16
	ds_write_b128 v0, v[44:47] offset:32
	;; [unrolled: 1-line block ×10, first 2 shown]
.LBB0_7:
	s_or_b32 exec_lo, exec_lo, s0
	s_clause 0x1
	s_load_dwordx2 s[2:3], s[4:5], 0x20
	s_load_dwordx2 s[4:5], s[4:5], 0x8
	v_cmp_gt_u16_e64 s0, 0x4d, v149
	v_add_lshl_u32 v152, v156, v149, 4
	s_waitcnt lgkmcnt(0)
	s_barrier
	buffer_gl0_inv
	s_and_saveexec_b32 s1, s0
	s_cbranch_execz .LBB0_9
; %bb.8:
	ds_read_b128 v[40:43], v152
	ds_read_b128 v[56:59], v152 offset:1232
	ds_read_b128 v[44:47], v152 offset:2464
	ds_read_b128 v[64:67], v152 offset:3696
	ds_read_b128 v[48:51], v152 offset:4928
	ds_read_b128 v[68:71], v152 offset:6160
	ds_read_b128 v[52:55], v152 offset:7392
	ds_read_b128 v[72:75], v152 offset:8624
	ds_read_b128 v[60:63], v152 offset:9856
	ds_read_b128 v[76:79], v152 offset:11088
.LBB0_9:
	s_or_b32 exec_lo, exec_lo, s1
	v_and_b32_e32 v0, 0xff, v149
	s_mov_b32 s6, 0x134454ff
	s_mov_b32 s7, 0x3fee6f0e
	;; [unrolled: 1-line block ×4, first 2 shown]
	v_mul_lo_u16 v0, 0x75, v0
	s_mov_b32 s8, 0x4755a5e
	s_mov_b32 s9, 0x3fe2cf23
	s_mov_b32 s21, 0xbfe2cf23
	s_mov_b32 s20, s8
	v_lshrrev_b16 v0, 8, v0
	s_mov_b32 s10, 0x372fe950
	s_mov_b32 s11, 0x3fd3c6ef
	;; [unrolled: 1-line block ×4, first 2 shown]
	v_sub_nc_u16 v1, v149, v0
	v_lshrrev_b16 v1, 1, v1
	v_and_b32_e32 v1, 0x7f, v1
	v_add_nc_u16 v0, v1, v0
	v_lshrrev_b16 v154, 3, v0
	v_mul_lo_u16 v0, v154, 11
	v_sub_nc_u16 v0, v149, v0
	v_and_b32_e32 v153, 0xff, v0
	v_mad_u64_u32 v[16:17], null, 0x90, v153, s[4:5]
	s_clause 0x8
	global_load_dwordx4 v[4:7], v[16:17], off offset:32
	global_load_dwordx4 v[20:23], v[16:17], off offset:128
	;; [unrolled: 1-line block ×4, first 2 shown]
	global_load_dwordx4 v[0:3], v[16:17], off
	global_load_dwordx4 v[24:27], v[16:17], off offset:16
	global_load_dwordx4 v[12:15], v[16:17], off offset:112
	;; [unrolled: 1-line block ×4, first 2 shown]
	s_waitcnt vmcnt(0) lgkmcnt(0)
	s_barrier
	buffer_gl0_inv
	v_mul_f64 v[80:81], v[66:67], v[6:7]
	v_mul_f64 v[82:83], v[64:65], v[6:7]
	;; [unrolled: 1-line block ×10, first 2 shown]
	v_fma_f64 v[86:87], v[64:65], v[4:5], -v[80:81]
	v_fma_f64 v[90:91], v[66:67], v[4:5], v[82:83]
	v_fma_f64 v[78:79], v[78:79], v[20:21], v[84:85]
	v_fma_f64 v[76:77], v[76:77], v[20:21], -v[88:89]
	v_fma_f64 v[84:85], v[68:69], v[32:33], -v[92:93]
	;; [unrolled: 1-line block ×3, first 2 shown]
	v_fma_f64 v[88:89], v[70:71], v[32:33], v[96:97]
	v_fma_f64 v[82:83], v[74:75], v[28:29], v[98:99]
	v_mul_f64 v[64:65], v[46:47], v[26:27]
	v_mul_f64 v[66:67], v[62:63], v[14:15]
	;; [unrolled: 1-line block ×8, first 2 shown]
	v_fma_f64 v[58:59], v[58:59], v[0:1], v[100:101]
	v_fma_f64 v[56:57], v[56:57], v[0:1], -v[102:103]
	v_add_f64 v[100:101], v[90:91], v[78:79]
	v_add_f64 v[102:103], v[86:87], v[76:77]
	v_add_f64 v[129:130], v[86:87], -v[76:77]
	v_add_f64 v[105:106], v[84:85], v[80:81]
	v_add_f64 v[133:134], v[90:91], -v[78:79]
	v_add_f64 v[107:108], v[88:89], v[82:83]
	v_fma_f64 v[92:93], v[44:45], v[24:25], -v[64:65]
	v_fma_f64 v[44:45], v[60:61], v[12:13], -v[66:67]
	v_fma_f64 v[94:95], v[46:47], v[24:25], v[68:69]
	v_fma_f64 v[46:47], v[62:63], v[12:13], v[70:71]
	;; [unrolled: 1-line block ×4, first 2 shown]
	v_fma_f64 v[54:55], v[48:49], v[8:9], -v[96:97]
	v_fma_f64 v[48:49], v[52:53], v[16:17], -v[98:99]
	v_add_f64 v[96:97], v[84:85], -v[80:81]
	v_add_f64 v[123:124], v[88:89], -v[82:83]
	;; [unrolled: 1-line block ×7, first 2 shown]
	v_fma_f64 v[52:53], v[100:101], -0.5, v[58:59]
	v_fma_f64 v[62:63], v[102:103], -0.5, v[56:57]
	v_add_f64 v[100:101], v[90:91], -v[88:89]
	v_fma_f64 v[115:116], v[105:106], -0.5, v[56:57]
	v_add_f64 v[102:103], v[78:79], -v[82:83]
	;; [unrolled: 2-line block ×3, first 2 shown]
	v_add_f64 v[64:65], v[92:93], v[44:45]
	v_add_f64 v[125:126], v[92:93], -v[44:45]
	v_add_f64 v[66:67], v[94:95], v[46:47]
	v_add_f64 v[147:148], v[94:95], -v[46:47]
	;; [unrolled: 2-line block ×4, first 2 shown]
	v_add_f64 v[143:144], v[50:51], -v[46:47]
	v_add_f64 v[127:128], v[68:69], v[70:71]
	v_add_f64 v[68:69], v[72:73], v[74:75]
	v_fma_f64 v[119:120], v[96:97], s[6:7], v[52:53]
	v_fma_f64 v[135:136], v[123:124], s[18:19], v[62:63]
	v_fma_f64 v[62:63], v[123:124], s[6:7], v[62:63]
	v_fma_f64 v[52:53], v[96:97], s[18:19], v[52:53]
	v_fma_f64 v[137:138], v[133:134], s[18:19], v[115:116]
	v_fma_f64 v[139:140], v[129:130], s[6:7], v[109:110]
	v_add_f64 v[131:132], v[100:101], v[102:103]
	v_fma_f64 v[64:65], v[64:65], -0.5, v[40:41]
	v_add_f64 v[70:71], v[105:106], v[111:112]
	v_fma_f64 v[66:67], v[66:67], -0.5, v[42:43]
	v_add_f64 v[105:106], v[92:93], -v[54:55]
	v_fma_f64 v[121:122], v[117:118], -0.5, v[42:43]
	v_add_f64 v[111:112], v[44:45], -v[48:49]
	;; [unrolled: 2-line block ×3, first 2 shown]
	v_fma_f64 v[72:73], v[129:130], s[20:21], v[119:120]
	v_fma_f64 v[74:75], v[133:134], s[8:9], v[135:136]
	;; [unrolled: 1-line block ×6, first 2 shown]
	v_add_f64 v[119:120], v[48:49], -v[44:45]
	v_add_f64 v[135:136], v[94:95], -v[60:61]
	;; [unrolled: 1-line block ×4, first 2 shown]
	v_fma_f64 v[145:146], v[107:108], s[18:19], v[64:65]
	v_fma_f64 v[64:65], v[107:108], s[6:7], v[64:65]
	;; [unrolled: 1-line block ×6, first 2 shown]
	v_add_f64 v[141:142], v[105:106], v[111:112]
	v_fma_f64 v[72:73], v[70:71], s[10:11], v[72:73]
	v_fma_f64 v[74:75], v[68:69], s[10:11], v[74:75]
	;; [unrolled: 1-line block ×6, first 2 shown]
	v_add_f64 v[62:63], v[117:118], v[119:120]
	v_add_f64 v[137:138], v[135:136], v[137:138]
	;; [unrolled: 1-line block ×3, first 2 shown]
	v_fma_f64 v[52:53], v[147:148], s[8:9], v[145:146]
	v_fma_f64 v[64:65], v[147:148], s[20:21], v[64:65]
	;; [unrolled: 1-line block ×6, first 2 shown]
	v_mul_f64 v[117:118], v[72:73], s[6:7]
	v_mul_f64 v[119:120], v[74:75], s[18:19]
	;; [unrolled: 1-line block ×6, first 2 shown]
	v_fma_f64 v[52:53], v[62:63], s[10:11], v[52:53]
	v_fma_f64 v[62:63], v[62:63], s[10:11], v[64:65]
	;; [unrolled: 1-line block ×8, first 2 shown]
	v_fma_f64 v[111:112], v[70:71], s[6:7], -v[143:144]
	v_fma_f64 v[143:144], v[68:69], s[18:19], -v[145:146]
	;; [unrolled: 1-line block ×4, first 2 shown]
	v_add_f64 v[72:73], v[52:53], -v[105:106]
	v_add_f64 v[74:75], v[100:101], -v[117:118]
	;; [unrolled: 1-line block ×6, first 2 shown]
	s_and_saveexec_b32 s1, s0
	s_cbranch_execz .LBB0_11
; %bb.10:
	v_mul_f64 v[133:134], v[133:134], s[6:7]
	v_mul_f64 v[129:130], v[129:130], s[6:7]
	;; [unrolled: 1-line block ×4, first 2 shown]
	v_add_f64 v[42:43], v[42:43], v[94:95]
	v_add_f64 v[58:59], v[58:59], v[90:91]
	;; [unrolled: 1-line block ×4, first 2 shown]
	v_mul_f64 v[86:87], v[125:126], s[6:7]
	v_mul_f64 v[90:91], v[127:128], s[10:11]
	;; [unrolled: 1-line block ×4, first 2 shown]
	v_add_f64 v[115:116], v[115:116], v[133:134]
	v_add_f64 v[109:110], v[109:110], -v[129:130]
	v_mul_f64 v[129:130], v[147:148], s[6:7]
	v_add_f64 v[42:43], v[42:43], v[60:61]
	v_add_f64 v[58:59], v[58:59], v[88:89]
	;; [unrolled: 1-line block ×4, first 2 shown]
	v_mul_f64 v[56:57], v[98:99], s[8:9]
	v_add_f64 v[60:61], v[121:122], -v[86:87]
	v_add_f64 v[92:93], v[123:124], v[115:116]
	v_add_f64 v[96:97], v[109:110], -v[96:97]
	v_add_f64 v[86:87], v[113:114], v[129:130]
	v_add_f64 v[42:43], v[42:43], v[50:51]
	;; [unrolled: 1-line block ×5, first 2 shown]
	v_mul_f64 v[54:55], v[137:138], s[10:11]
	v_add_f64 v[56:57], v[60:61], -v[56:57]
	v_add_f64 v[84:85], v[90:91], v[92:93]
	v_add_f64 v[88:89], v[94:95], v[96:97]
	v_mul_f64 v[90:91], v[141:142], s[10:11]
	v_add_f64 v[60:61], v[107:108], v[86:87]
	v_add_f64 v[82:83], v[42:43], v[46:47]
	;; [unrolled: 1-line block ×7, first 2 shown]
	v_mov_b32_e32 v54, 0x6e
	v_add_f64 v[48:49], v[52:53], v[105:106]
	v_add_f64 v[46:47], v[135:136], v[143:144]
	;; [unrolled: 1-line block ×5, first 2 shown]
	v_mul_f64 v[58:59], v[84:85], s[8:9]
	v_mul_f64 v[80:81], v[88:89], s[8:9]
	v_add_f64 v[60:61], v[90:91], v[60:61]
	v_add_f64 v[56:57], v[86:87], v[76:77]
	v_add_f64 v[52:53], v[86:87], -v[76:77]
	v_fma_f64 v[88:89], v[88:89], s[16:17], -v[58:59]
	v_fma_f64 v[80:81], v[84:85], s[16:17], v[80:81]
	v_add_f64 v[58:59], v[82:83], v[78:79]
	v_mul_u32_u24_sdwa v84, v154, v54 dst_sel:DWORD dst_unused:UNUSED_PAD src0_sel:WORD_0 src1_sel:DWORD
	v_add_f64 v[54:55], v[82:83], -v[78:79]
	v_add_f64 v[78:79], v[92:93], v[88:89]
	v_add_f64 v[76:77], v[60:61], v[80:81]
	v_add_f64 v[62:63], v[92:93], -v[88:89]
	v_add_f64 v[60:61], v[60:61], -v[80:81]
	v_add_nc_u32_e32 v80, v84, v153
	v_add_lshl_u32 v80, v156, v80, 4
	ds_write_b128 v80, v[72:75] offset:1232
	ds_write_b128 v80, v[68:71] offset:1408
	;; [unrolled: 1-line block ×5, first 2 shown]
	ds_write_b128 v80, v[56:59]
	ds_write_b128 v80, v[52:55] offset:880
	ds_write_b128 v80, v[76:79] offset:176
	;; [unrolled: 1-line block ×4, first 2 shown]
.LBB0_11:
	s_or_b32 exec_lo, exec_lo, s1
	v_mad_u64_u32 v[52:53], null, 0x60, v149, s[4:5]
	s_load_dwordx4 s[4:7], s[2:3], 0x0
	s_waitcnt lgkmcnt(0)
	s_barrier
	buffer_gl0_inv
	s_mov_b32 s2, 0x37e14327
	s_mov_b32 s3, 0x3fe948f6
	s_clause 0x5
	global_load_dwordx4 v[44:47], v[52:53], off offset:1584
	global_load_dwordx4 v[40:43], v[52:53], off offset:1600
	global_load_dwordx4 v[48:51], v[52:53], off offset:1664
	global_load_dwordx4 v[60:63], v[52:53], off offset:1648
	global_load_dwordx4 v[56:59], v[52:53], off offset:1616
	global_load_dwordx4 v[52:55], v[52:53], off offset:1632
	ds_read_b128 v[76:79], v152 offset:1760
	ds_read_b128 v[80:83], v152 offset:3520
	;; [unrolled: 1-line block ×6, first 2 shown]
	s_mov_b32 s8, 0x36b3c0b5
	s_mov_b32 s10, 0xe976ee23
	;; [unrolled: 1-line block ×8, first 2 shown]
	v_lshl_add_u32 v145, v149, 4, v151
	s_waitcnt vmcnt(5) lgkmcnt(5)
	v_mul_f64 v[100:101], v[78:79], v[46:47]
	v_mul_f64 v[102:103], v[76:77], v[46:47]
	s_waitcnt vmcnt(4) lgkmcnt(4)
	v_mul_f64 v[105:106], v[82:83], v[42:43]
	v_mul_f64 v[107:108], v[80:81], v[42:43]
	;; [unrolled: 3-line block ×6, first 2 shown]
	v_fma_f64 v[76:77], v[76:77], v[44:45], -v[100:101]
	v_fma_f64 v[78:79], v[78:79], v[44:45], v[102:103]
	v_fma_f64 v[80:81], v[80:81], v[40:41], -v[105:106]
	v_fma_f64 v[82:83], v[82:83], v[40:41], v[107:108]
	;; [unrolled: 2-line block ×6, first 2 shown]
	v_add_f64 v[100:101], v[76:77], v[84:85]
	v_add_f64 v[102:103], v[78:79], v[86:87]
	;; [unrolled: 1-line block ×4, first 2 shown]
	v_add_f64 v[80:81], v[80:81], -v[88:89]
	v_add_f64 v[82:83], v[82:83], -v[90:91]
	v_add_f64 v[109:110], v[92:93], v[96:97]
	v_add_f64 v[111:112], v[94:95], v[98:99]
	v_add_f64 v[88:89], v[96:97], -v[92:93]
	v_add_f64 v[90:91], v[98:99], -v[94:95]
	v_add_f64 v[84:85], v[76:77], -v[84:85]
	v_add_f64 v[86:87], v[78:79], -v[86:87]
	ds_read_b128 v[76:79], v152
	v_add_f64 v[92:93], v[105:106], v[100:101]
	v_add_f64 v[94:95], v[107:108], v[102:103]
	v_add_f64 v[96:97], v[100:101], -v[109:110]
	v_add_f64 v[98:99], v[102:103], -v[111:112]
	;; [unrolled: 1-line block ×10, first 2 shown]
	v_add_f64 v[80:81], v[88:89], v[80:81]
	v_add_f64 v[82:83], v[90:91], v[82:83]
	v_add_f64 v[88:89], v[84:85], -v[88:89]
	v_add_f64 v[90:91], v[86:87], -v[90:91]
	v_add_f64 v[92:93], v[109:110], v[92:93]
	v_add_f64 v[94:95], v[111:112], v[94:95]
	v_mul_f64 v[96:97], v[96:97], s[2:3]
	v_mul_f64 v[98:99], v[98:99], s[2:3]
	s_mov_b32 s2, 0x429ad128
	v_mul_f64 v[105:106], v[113:114], s[8:9]
	v_mul_f64 v[107:108], v[115:116], s[8:9]
	;; [unrolled: 1-line block ×4, first 2 shown]
	s_mov_b32 s3, 0x3febfeb5
	s_mov_b32 s10, 0xaaaaaaaa
	v_mul_f64 v[117:118], v[121:122], s[2:3]
	v_mul_f64 v[119:120], v[123:124], s[2:3]
	s_mov_b32 s11, 0xbff2aaaa
	v_add_f64 v[80:81], v[80:81], v[84:85]
	v_add_f64 v[82:83], v[82:83], v[86:87]
	s_waitcnt lgkmcnt(0)
	v_add_f64 v[76:77], v[76:77], v[92:93]
	v_add_f64 v[78:79], v[78:79], v[94:95]
	v_fma_f64 v[84:85], v[113:114], s[8:9], v[96:97]
	v_fma_f64 v[86:87], v[115:116], s[8:9], v[98:99]
	v_fma_f64 v[105:106], v[100:101], s[16:17], -v[105:106]
	v_fma_f64 v[107:108], v[102:103], s[16:17], -v[107:108]
	s_mov_b32 s17, 0xbfe77f67
	v_fma_f64 v[113:114], v[88:89], s[18:19], v[109:110]
	v_fma_f64 v[115:116], v[90:91], s[18:19], v[111:112]
	s_mov_b32 s19, 0xbfd5d0dc
	v_fma_f64 v[109:110], v[121:122], s[2:3], -v[109:110]
	v_fma_f64 v[111:112], v[123:124], s[2:3], -v[111:112]
	;; [unrolled: 1-line block ×6, first 2 shown]
	s_mov_b32 s2, 0x37c3f68c
	s_mov_b32 s3, 0x3fdc38aa
	v_fma_f64 v[92:93], v[92:93], s[10:11], v[76:77]
	v_fma_f64 v[94:95], v[94:95], s[10:11], v[78:79]
	;; [unrolled: 1-line block ×8, first 2 shown]
	v_add_f64 v[84:85], v[84:85], v[92:93]
	v_add_f64 v[86:87], v[86:87], v[94:95]
	;; [unrolled: 1-line block ×7, first 2 shown]
	v_add_f64 v[102:103], v[86:87], -v[113:114]
	v_add_f64 v[96:97], v[80:81], v[82:83]
	v_add_f64 v[98:99], v[119:120], -v[117:118]
	v_add_f64 v[92:93], v[88:89], -v[111:112]
	v_add_f64 v[94:95], v[109:110], v[90:91]
	v_add_f64 v[88:89], v[111:112], v[88:89]
	v_add_f64 v[90:91], v[90:91], -v[109:110]
	v_add_f64 v[80:81], v[82:83], -v[80:81]
	v_add_f64 v[82:83], v[117:118], v[119:120]
	v_add_f64 v[84:85], v[84:85], -v[115:116]
	v_add_f64 v[86:87], v[113:114], v[86:87]
	ds_write_b128 v145, v[76:79]
	ds_write_b128 v145, v[100:103] offset:1760
	ds_write_b128 v145, v[96:99] offset:3520
	;; [unrolled: 1-line block ×6, first 2 shown]
	s_waitcnt lgkmcnt(0)
	s_barrier
	buffer_gl0_inv
	s_and_saveexec_b32 s2, vcc_lo
	s_cbranch_execz .LBB0_13
; %bb.12:
	v_add_co_u32 v137, s1, s14, v150
	v_add_co_ci_u32_e64 v138, null, s15, 0, s1
	v_add_co_u32 v105, s1, 0x3000, v137
	v_add_co_ci_u32_e64 v106, s1, 0, v138, s1
	v_add_co_u32 v109, s1, 0x3020, v137
	v_add_co_ci_u32_e64 v110, s1, 0, v138, s1
	;; [unrolled: 2-line block ×4, first 2 shown]
	v_add_co_u32 v133, s1, 0x4800, v137
	s_clause 0x1
	global_load_dwordx4 v[105:108], v[105:106], off offset:32
	global_load_dwordx4 v[109:112], v[109:110], off offset:1120
	v_add_co_ci_u32_e64 v134, s1, 0, v138, s1
	v_add_co_u32 v141, s1, 0x5000, v137
	v_add_co_ci_u32_e64 v142, s1, 0, v138, s1
	v_add_co_u32 v146, s1, 0x5800, v137
	s_clause 0x5
	global_load_dwordx4 v[113:116], v[117:118], off offset:224
	global_load_dwordx4 v[117:120], v[117:118], off offset:1344
	;; [unrolled: 1-line block ×6, first 2 shown]
	v_add_co_ci_u32_e64 v147, s1, 0, v138, s1
	s_clause 0x2
	global_load_dwordx4 v[137:140], v[141:142], off offset:800
	global_load_dwordx4 v[141:144], v[141:142], off offset:1920
	global_load_dwordx4 v[156:159], v[146:147], off offset:992
	ds_read_b128 v[160:163], v145
	ds_read_b128 v[164:167], v145 offset:1120
	ds_read_b128 v[168:171], v145 offset:2240
	;; [unrolled: 1-line block ×10, first 2 shown]
	s_waitcnt vmcnt(10) lgkmcnt(10)
	v_mul_f64 v[146:147], v[162:163], v[107:108]
	v_mul_f64 v[107:108], v[160:161], v[107:108]
	s_waitcnt vmcnt(9) lgkmcnt(9)
	v_mul_f64 v[204:205], v[166:167], v[111:112]
	v_mul_f64 v[111:112], v[164:165], v[111:112]
	;; [unrolled: 3-line block ×11, first 2 shown]
	v_fma_f64 v[158:159], v[160:161], v[105:106], -v[146:147]
	v_fma_f64 v[160:161], v[162:163], v[105:106], v[107:108]
	v_fma_f64 v[105:106], v[164:165], v[109:110], -v[204:205]
	v_fma_f64 v[107:108], v[166:167], v[109:110], v[111:112]
	;; [unrolled: 2-line block ×11, first 2 shown]
	ds_write_b128 v145, v[158:161]
	ds_write_b128 v145, v[105:108] offset:1120
	ds_write_b128 v145, v[109:112] offset:2240
	;; [unrolled: 1-line block ×10, first 2 shown]
.LBB0_13:
	s_or_b32 exec_lo, exec_lo, s2
	s_waitcnt lgkmcnt(0)
	s_barrier
	buffer_gl0_inv
	s_and_saveexec_b32 s1, vcc_lo
	s_cbranch_execz .LBB0_15
; %bb.14:
	ds_read_b128 v[76:79], v145
	ds_read_b128 v[100:103], v145 offset:1120
	ds_read_b128 v[96:99], v145 offset:2240
	;; [unrolled: 1-line block ×10, first 2 shown]
.LBB0_15:
	s_or_b32 exec_lo, exec_lo, s1
	s_waitcnt lgkmcnt(9)
	v_add_f64 v[109:110], v[76:77], v[100:101]
	v_add_f64 v[111:112], v[78:79], v[102:103]
	s_waitcnt lgkmcnt(2)
	v_add_f64 v[113:114], v[92:93], v[68:69]
	v_add_f64 v[115:116], v[94:95], v[70:71]
	v_add_f64 v[137:138], v[92:93], -v[68:69]
	v_add_f64 v[133:134], v[94:95], -v[70:71]
	s_waitcnt lgkmcnt(0)
	v_add_f64 v[105:106], v[100:101], v[36:37]
	v_add_f64 v[107:108], v[102:103], v[38:39]
	v_add_f64 v[100:101], v[100:101], -v[36:37]
	v_add_f64 v[102:103], v[102:103], -v[38:39]
	v_add_f64 v[117:118], v[88:89], v[72:73]
	v_add_f64 v[119:120], v[90:91], v[74:75]
	v_add_f64 v[139:140], v[88:89], -v[72:73]
	v_add_f64 v[141:142], v[90:91], -v[74:75]
	s_mov_b32 s18, 0xf8bb580b
	s_mov_b32 s19, 0xbfe14ced
	;; [unrolled: 1-line block ×8, first 2 shown]
	v_add_f64 v[121:122], v[109:110], v[96:97]
	v_add_f64 v[123:124], v[111:112], v[98:99]
	;; [unrolled: 1-line block ×4, first 2 shown]
	v_add_f64 v[96:97], v[96:97], -v[64:65]
	v_add_f64 v[98:99], v[98:99], -v[66:67]
	s_mov_b32 s16, 0x7f775887
	s_mov_b32 s20, 0x9bcd5057
	v_mul_f64 v[129:130], v[100:101], s[18:19]
	s_mov_b32 s3, 0x3feaeb8c
	s_mov_b32 s23, 0xbfed1bb4
	;; [unrolled: 1-line block ×8, first 2 shown]
	v_mul_f64 v[135:136], v[102:103], s[22:23]
	v_mul_f64 v[143:144], v[107:108], s[10:11]
	;; [unrolled: 1-line block ×5, first 2 shown]
	v_add_f64 v[92:93], v[121:122], v[92:93]
	v_add_f64 v[94:95], v[123:124], v[94:95]
	v_mul_f64 v[121:122], v[102:103], s[18:19]
	v_mul_f64 v[160:161], v[107:108], s[16:17]
	;; [unrolled: 1-line block ×5, first 2 shown]
	s_mov_b32 s36, 0xfd768dbf
	v_fma_f64 v[192:193], v[107:108], s[2:3], -v[129:130]
	s_mov_b32 s25, 0x3fed1bb4
	s_mov_b32 s35, 0x3fe82f19
	;; [unrolled: 1-line block ×8, first 2 shown]
	v_mul_f64 v[102:103], v[102:103], s[36:37]
	v_mul_f64 v[164:165], v[98:99], s[30:31]
	v_mul_f64 v[166:167], v[111:112], s[20:21]
	v_mul_f64 v[168:169], v[98:99], s[28:29]
	v_mul_f64 v[170:171], v[111:112], s[8:9]
	v_add_f64 v[88:89], v[92:93], v[88:89]
	v_add_f64 v[90:91], v[94:95], v[90:91]
	v_fma_f64 v[190:191], v[105:106], s[2:3], v[121:122]
	v_mul_f64 v[92:93], v[111:112], s[16:17]
	v_mul_f64 v[94:95], v[98:99], s[40:41]
	v_mul_f64 v[172:173], v[111:112], s[2:3]
	v_mul_f64 v[127:128], v[133:134], s[26:27]
	v_mul_f64 v[131:132], v[137:138], s[26:27]
	v_fma_f64 v[194:195], v[105:106], s[10:11], v[135:136]
	v_fma_f64 v[196:197], v[100:101], s[24:25], v[143:144]
	v_fma_f64 v[135:136], v[105:106], s[10:11], -v[135:136]
	v_fma_f64 v[143:144], v[100:101], s[22:23], v[143:144]
	v_fma_f64 v[198:199], v[105:106], s[8:9], v[146:147]
	;; [unrolled: 1-line block ×3, first 2 shown]
	v_fma_f64 v[146:147], v[105:106], s[8:9], -v[146:147]
	v_fma_f64 v[156:157], v[100:101], s[26:27], v[156:157]
	v_fma_f64 v[202:203], v[105:106], s[16:17], v[158:159]
	v_fma_f64 v[204:205], v[100:101], s[34:35], v[160:161]
	v_fma_f64 v[160:161], v[100:101], s[30:31], v[160:161]
	v_fma_f64 v[208:209], v[100:101], s[40:41], v[162:163]
	v_fma_f64 v[100:101], v[100:101], s[36:37], v[162:163]
	v_fma_f64 v[162:163], v[109:110], s[10:11], v[123:124]
	v_add_f64 v[88:89], v[88:89], v[80:81]
	v_add_f64 v[90:91], v[90:91], v[82:83]
	v_fma_f64 v[210:211], v[111:112], s[10:11], -v[125:126]
	s_mov_b32 s39, 0x3fe14ced
	s_mov_b32 s38, s18
	v_mul_f64 v[174:175], v[133:134], s[40:41]
	v_mul_f64 v[98:99], v[98:99], s[38:39]
	;; [unrolled: 1-line block ×7, first 2 shown]
	v_fma_f64 v[158:159], v[105:106], s[16:17], -v[158:159]
	v_fma_f64 v[206:207], v[105:106], s[20:21], v[102:103]
	v_fma_f64 v[102:103], v[105:106], s[20:21], -v[102:103]
	v_fma_f64 v[212:213], v[109:110], s[16:17], v[164:165]
	v_fma_f64 v[214:215], v[96:97], s[34:35], v[92:93]
	v_fma_f64 v[164:165], v[109:110], s[16:17], -v[164:165]
	v_fma_f64 v[92:93], v[96:97], s[30:31], v[92:93]
	v_fma_f64 v[216:217], v[109:110], s[20:21], v[94:95]
	;; [unrolled: 1-line block ×3, first 2 shown]
	v_fma_f64 v[94:95], v[109:110], s[20:21], -v[94:95]
	v_add_f64 v[88:89], v[88:89], v[84:85]
	v_add_f64 v[90:91], v[90:91], v[86:87]
	v_fma_f64 v[166:167], v[96:97], s[40:41], v[166:167]
	v_fma_f64 v[220:221], v[109:110], s[8:9], v[168:169]
	;; [unrolled: 1-line block ×7, first 2 shown]
	v_fma_f64 v[228:229], v[115:116], s[8:9], -v[131:132]
	v_add_f64 v[194:195], v[76:77], v[194:195]
	v_add_f64 v[135:136], v[76:77], v[135:136]
	;; [unrolled: 1-line block ×10, first 2 shown]
	v_mul_f64 v[186:187], v[133:134], s[30:31]
	v_mul_f64 v[188:189], v[115:116], s[16:17]
	v_add_f64 v[72:73], v[88:89], v[72:73]
	v_add_f64 v[74:75], v[90:91], v[74:75]
	;; [unrolled: 1-line block ×4, first 2 shown]
	v_mul_f64 v[133:134], v[141:142], s[30:31]
	v_fma_f64 v[168:169], v[109:110], s[8:9], -v[168:169]
	v_fma_f64 v[224:225], v[109:110], s[2:3], v[98:99]
	v_fma_f64 v[98:99], v[109:110], s[2:3], -v[98:99]
	v_fma_f64 v[230:231], v[113:114], s[20:21], v[174:175]
	v_fma_f64 v[232:233], v[137:138], s[36:37], v[176:177]
	v_fma_f64 v[174:175], v[113:114], s[20:21], -v[174:175]
	v_fma_f64 v[176:177], v[137:138], s[40:41], v[176:177]
	v_fma_f64 v[88:89], v[113:114], s[10:11], v[178:179]
	v_fma_f64 v[192:193], v[137:138], s[22:23], v[180:181]
	v_add_f64 v[196:197], v[78:79], v[196:197]
	v_add_f64 v[158:159], v[76:77], v[158:159]
	;; [unrolled: 1-line block ×12, first 2 shown]
	v_fma_f64 v[72:73], v[113:114], s[10:11], -v[178:179]
	v_fma_f64 v[162:163], v[137:138], s[24:25], v[180:181]
	v_add_f64 v[178:179], v[212:213], v[194:195]
	v_add_f64 v[190:191], v[218:219], v[200:201]
	;; [unrolled: 1-line block ×7, first 2 shown]
	v_fma_f64 v[100:101], v[137:138], s[38:39], v[184:185]
	v_add_f64 v[208:209], v[78:79], v[208:209]
	v_add_f64 v[180:181], v[214:215], v[196:197]
	;; [unrolled: 1-line block ×6, first 2 shown]
	v_mul_f64 v[135:136], v[139:140], s[30:31]
	v_fma_f64 v[102:103], v[113:114], s[2:3], -v[182:183]
	v_add_f64 v[64:65], v[68:69], v[64:65]
	v_add_f64 v[66:67], v[70:71], v[66:67]
	v_fma_f64 v[68:69], v[113:114], s[2:3], v[182:183]
	v_add_f64 v[70:71], v[172:173], v[74:75]
	v_add_f64 v[74:75], v[228:229], v[90:91]
	v_mul_f64 v[90:91], v[141:142], s[28:29]
	v_mul_f64 v[172:173], v[119:120], s[8:9]
	v_add_f64 v[178:179], v[230:231], v[178:179]
	v_add_f64 v[164:165], v[174:175], v[164:165]
	;; [unrolled: 1-line block ×3, first 2 shown]
	v_fma_f64 v[174:175], v[137:138], s[18:19], v[184:185]
	v_fma_f64 v[176:177], v[113:114], s[16:17], v[186:187]
	v_add_f64 v[88:89], v[88:89], v[143:144]
	v_add_f64 v[182:183], v[192:193], v[190:191]
	v_fma_f64 v[143:144], v[137:138], s[34:35], v[188:189]
	v_fma_f64 v[184:185], v[113:114], s[16:17], -v[186:187]
	v_fma_f64 v[137:138], v[137:138], s[30:31], v[188:189]
	v_add_f64 v[72:73], v[72:73], v[94:95]
	v_add_f64 v[94:95], v[162:163], v[146:147]
	v_fma_f64 v[146:147], v[117:118], s[16:17], v[133:134]
	v_mul_f64 v[162:163], v[119:120], s[2:3]
	v_add_f64 v[100:101], v[100:101], v[166:167]
	v_mul_f64 v[166:167], v[141:142], s[36:37]
	v_mul_f64 v[190:191], v[119:120], s[20:21]
	v_add_f64 v[68:69], v[68:69], v[156:157]
	v_mul_f64 v[156:157], v[141:142], s[18:19]
	v_add_f64 v[170:171], v[226:227], v[208:209]
	v_fma_f64 v[188:189], v[117:118], s[8:9], v[90:91]
	v_fma_f64 v[90:91], v[117:118], s[8:9], -v[90:91]
	v_add_f64 v[180:181], v[232:233], v[180:181]
	v_fma_f64 v[186:187], v[119:120], s[16:17], -v[135:136]
	v_add_f64 v[102:103], v[102:103], v[158:159]
	v_fma_f64 v[158:159], v[139:140], s[26:27], v[172:173]
	v_fma_f64 v[172:173], v[139:140], s[28:29], v[172:173]
	v_add_f64 v[160:161], v[174:175], v[160:161]
	v_add_f64 v[168:169], v[176:177], v[168:169]
	v_mul_f64 v[141:142], v[141:142], s[24:25]
	v_mul_f64 v[174:175], v[119:120], s[10:11]
	v_add_f64 v[98:99], v[184:185], v[98:99]
	v_add_f64 v[96:97], v[137:138], v[96:97]
	v_add_f64 v[176:177], v[82:83], -v[86:87]
	v_add_f64 v[184:185], v[80:81], -v[84:85]
	v_add_f64 v[70:71], v[146:147], v[70:71]
	v_add_f64 v[137:138], v[82:83], v[86:87]
	v_fma_f64 v[86:87], v[139:140], s[38:39], v[162:163]
	v_fma_f64 v[162:163], v[139:140], s[18:19], v[162:163]
	v_add_f64 v[36:37], v[64:65], v[36:37]
	v_fma_f64 v[82:83], v[117:118], s[2:3], v[156:157]
	v_fma_f64 v[156:157], v[117:118], s[2:3], -v[156:157]
	v_add_f64 v[146:147], v[188:189], v[178:179]
	v_add_f64 v[90:91], v[90:91], v[164:165]
	v_fma_f64 v[164:165], v[117:118], s[20:21], v[166:167]
	v_fma_f64 v[178:179], v[139:140], s[40:41], v[190:191]
	v_add_f64 v[170:171], v[143:144], v[170:171]
	v_add_f64 v[74:75], v[186:187], v[74:75]
	;; [unrolled: 1-line block ×4, first 2 shown]
	v_fma_f64 v[166:167], v[117:118], s[20:21], -v[166:167]
	v_fma_f64 v[172:173], v[139:140], s[36:37], v[190:191]
	v_fma_f64 v[180:181], v[117:118], s[10:11], v[141:142]
	;; [unrolled: 1-line block ×3, first 2 shown]
	v_fma_f64 v[188:189], v[117:118], s[10:11], -v[141:142]
	v_fma_f64 v[174:175], v[139:140], s[24:25], v[174:175]
	v_add_f64 v[143:144], v[80:81], v[84:85]
	v_mul_f64 v[139:140], v[176:177], s[36:37]
	v_mul_f64 v[141:142], v[184:185], s[36:37]
	;; [unrolled: 1-line block ×4, first 2 shown]
	v_add_f64 v[86:87], v[86:87], v[182:183]
	v_add_f64 v[82:83], v[82:83], v[88:89]
	v_mul_f64 v[88:89], v[176:177], s[30:31]
	v_mul_f64 v[182:183], v[137:138], s[16:17]
	v_add_f64 v[156:157], v[156:157], v[72:73]
	v_add_f64 v[94:95], v[162:163], v[94:95]
	v_mul_f64 v[72:73], v[176:177], s[24:25]
	v_mul_f64 v[162:163], v[137:138], s[10:11]
	;; [unrolled: 4-line block ×3, first 2 shown]
	v_add_f64 v[166:167], v[166:167], v[102:103]
	v_add_f64 v[160:161], v[172:173], v[160:161]
	;; [unrolled: 1-line block ×6, first 2 shown]
	v_fma_f64 v[96:97], v[143:144], s[20:21], v[139:140]
	v_fma_f64 v[98:99], v[137:138], s[20:21], -v[141:142]
	v_fma_f64 v[102:103], v[143:144], s[2:3], v[80:81]
	v_fma_f64 v[178:179], v[184:185], s[18:19], v[84:85]
	v_fma_f64 v[80:81], v[143:144], s[2:3], -v[80:81]
	v_fma_f64 v[84:85], v[184:185], s[38:39], v[84:85]
	v_fma_f64 v[180:181], v[143:144], s[16:17], v[88:89]
	v_fma_f64 v[186:187], v[184:185], s[34:35], v[182:183]
	v_fma_f64 v[88:89], v[143:144], s[16:17], -v[88:89]
	v_fma_f64 v[182:183], v[184:185], s[30:31], v[182:183]
	;; [unrolled: 4-line block ×4, first 2 shown]
	v_add_f64 v[38:39], v[66:67], v[38:39]
	s_barrier
	buffer_gl0_inv
	v_add_f64 v[64:65], v[96:97], v[70:71]
	v_add_f64 v[66:67], v[98:99], v[74:75]
	;; [unrolled: 1-line block ×18, first 2 shown]
	s_and_saveexec_b32 s1, vcc_lo
	s_cbranch_execz .LBB0_17
; %bb.16:
	v_mul_f64 v[107:108], v[107:108], s[2:3]
	v_mul_f64 v[105:106], v[105:106], s[2:3]
	;; [unrolled: 1-line block ×6, first 2 shown]
	v_add_f64 v[107:108], v[129:130], v[107:108]
	v_add_f64 v[105:106], v[105:106], -v[121:122]
	v_add_f64 v[111:112], v[125:126], v[111:112]
	v_add_f64 v[109:110], v[109:110], -v[123:124]
	v_add_f64 v[113:114], v[113:114], -v[127:128]
	v_add_f64 v[115:116], v[131:132], v[115:116]
	v_add_f64 v[78:79], v[78:79], v[107:108]
	;; [unrolled: 1-line block ×3, first 2 shown]
	v_mul_f64 v[105:106], v[117:118], s[16:17]
	v_mul_f64 v[107:108], v[119:120], s[16:17]
	v_add_f64 v[78:79], v[111:112], v[78:79]
	v_add_f64 v[76:77], v[109:110], v[76:77]
	v_mul_f64 v[109:110], v[143:144], s[20:21]
	v_mul_f64 v[111:112], v[137:138], s[20:21]
	v_add_f64 v[107:108], v[135:136], v[107:108]
	v_add_f64 v[105:106], v[105:106], -v[133:134]
	v_add_f64 v[78:79], v[115:116], v[78:79]
	v_add_f64 v[76:77], v[113:114], v[76:77]
	v_add_f64 v[109:110], v[109:110], -v[139:140]
	v_add_f64 v[111:112], v[141:142], v[111:112]
	v_add_f64 v[78:79], v[107:108], v[78:79]
	;; [unrolled: 1-line block ×3, first 2 shown]
	v_and_b32_e32 v105, 0xffff, v155
	v_lshl_add_u32 v105, v105, 4, v151
	v_add_f64 v[78:79], v[111:112], v[78:79]
	v_add_f64 v[76:77], v[109:110], v[76:77]
	ds_write_b128 v105, v[36:39]
	ds_write_b128 v105, v[64:67] offset:16
	ds_write_b128 v105, v[72:75] offset:32
	;; [unrolled: 1-line block ×10, first 2 shown]
.LBB0_17:
	s_or_b32 exec_lo, exec_lo, s1
	s_waitcnt lgkmcnt(0)
	s_barrier
	buffer_gl0_inv
	s_and_saveexec_b32 s1, s0
	s_cbranch_execz .LBB0_19
; %bb.18:
	ds_read_b128 v[36:39], v152
	ds_read_b128 v[64:67], v152 offset:1232
	ds_read_b128 v[72:75], v152 offset:2464
	;; [unrolled: 1-line block ×9, first 2 shown]
.LBB0_19:
	s_or_b32 exec_lo, exec_lo, s1
	s_waitcnt lgkmcnt(0)
	s_barrier
	buffer_gl0_inv
	s_and_saveexec_b32 s24, s0
	s_cbranch_execz .LBB0_21
; %bb.20:
	v_mul_f64 v[76:77], v[6:7], v[84:85]
	v_mul_f64 v[78:79], v[34:35], v[92:93]
	;; [unrolled: 1-line block ×18, first 2 shown]
	s_mov_b32 s2, 0x134454ff
	s_mov_b32 s3, 0xbfee6f0e
	;; [unrolled: 1-line block ×4, first 2 shown]
	v_fma_f64 v[76:77], v[4:5], v[86:87], -v[76:77]
	v_fma_f64 v[78:79], v[32:33], v[94:95], -v[78:79]
	;; [unrolled: 1-line block ×5, first 2 shown]
	s_mov_b32 s8, 0x4755a5e
	v_fma_f64 v[4:5], v[4:5], v[84:85], v[6:7]
	v_fma_f64 v[6:7], v[32:33], v[92:93], v[34:35]
	;; [unrolled: 1-line block ×5, first 2 shown]
	v_fma_f64 v[24:25], v[0:1], v[66:67], -v[117:118]
	v_fma_f64 v[70:71], v[8:9], v[70:71], -v[111:112]
	;; [unrolled: 1-line block ×4, first 2 shown]
	v_fma_f64 v[8:9], v[8:9], v[68:69], v[10:11]
	v_fma_f64 v[10:11], v[16:17], v[80:81], v[18:19]
	;; [unrolled: 1-line block ×4, first 2 shown]
	s_mov_b32 s9, 0xbfe2cf23
	s_mov_b32 s21, 0x3fe2cf23
	;; [unrolled: 1-line block ×4, first 2 shown]
	v_add_f64 v[92:93], v[76:77], -v[78:79]
	v_add_f64 v[26:27], v[78:79], v[86:87]
	v_add_f64 v[30:31], v[76:77], v[94:95]
	v_add_f64 v[84:85], v[76:77], -v[94:95]
	v_add_f64 v[88:89], v[78:79], -v[86:87]
	;; [unrolled: 1-line block ×4, first 2 shown]
	v_add_f64 v[18:19], v[4:5], v[20:21]
	v_add_f64 v[16:17], v[6:7], v[28:29]
	v_add_f64 v[32:33], v[4:5], -v[20:21]
	v_add_f64 v[34:35], v[6:7], -v[28:29]
	;; [unrolled: 1-line block ×3, first 2 shown]
	v_add_f64 v[102:103], v[74:75], v[90:91]
	v_add_f64 v[64:65], v[70:71], v[82:83]
	;; [unrolled: 1-line block ×4, first 2 shown]
	v_add_f64 v[121:122], v[22:23], -v[8:9]
	v_add_f64 v[119:120], v[22:23], v[12:13]
	v_add_f64 v[66:67], v[22:23], -v[12:13]
	v_add_f64 v[127:128], v[8:9], -v[22:23]
	v_add_f64 v[22:23], v[36:37], v[22:23]
	v_add_f64 v[2:3], v[74:75], -v[70:71]
	v_add_f64 v[14:15], v[90:91], -v[82:83]
	v_fma_f64 v[26:27], v[26:27], -0.5, v[24:25]
	v_fma_f64 v[30:31], v[30:31], -0.5, v[24:25]
	v_add_f64 v[24:25], v[24:25], v[76:77]
	v_add_f64 v[68:69], v[8:9], -v[10:11]
	v_add_f64 v[72:73], v[4:5], -v[6:7]
	;; [unrolled: 1-line block ×3, first 2 shown]
	v_fma_f64 v[18:19], v[18:19], -0.5, v[0:1]
	v_fma_f64 v[16:17], v[16:17], -0.5, v[0:1]
	v_add_f64 v[0:1], v[0:1], v[4:5]
	v_add_f64 v[98:99], v[70:71], -v[74:75]
	v_add_f64 v[105:106], v[6:7], -v[4:5]
	;; [unrolled: 1-line block ×4, first 2 shown]
	v_fma_f64 v[4:5], v[64:65], -0.5, v[38:39]
	v_fma_f64 v[38:39], v[102:103], -0.5, v[38:39]
	v_add_f64 v[64:65], v[92:93], v[96:97]
	v_add_f64 v[92:93], v[109:110], v[111:112]
	v_add_f64 v[125:126], v[70:71], -v[82:83]
	s_mov_b32 s1, 0x3fd3c6ef
	v_add_f64 v[70:71], v[113:114], v[70:71]
	v_add_f64 v[8:9], v[22:23], v[8:9]
	v_add_f64 v[100:101], v[82:83], -v[90:91]
	v_fma_f64 v[76:77], v[32:33], s[2:3], v[26:27]
	v_fma_f64 v[115:116], v[34:35], s[18:19], v[30:31]
	;; [unrolled: 1-line block ×4, first 2 shown]
	v_add_f64 v[24:25], v[24:25], v[78:79]
	v_add_f64 v[123:124], v[12:13], -v[10:11]
	v_fma_f64 v[102:103], v[88:89], s[2:3], v[18:19]
	v_fma_f64 v[96:97], v[84:85], s[18:19], v[16:17]
	v_fma_f64 v[18:19], v[88:89], s[18:19], v[18:19]
	v_fma_f64 v[16:17], v[84:85], s[2:3], v[16:17]
	v_add_f64 v[0:1], v[0:1], v[6:7]
	v_add_f64 v[2:3], v[2:3], v[14:15]
	;; [unrolled: 1-line block ×4, first 2 shown]
	v_fma_f64 v[6:7], v[66:67], s[2:3], v[4:5]
	v_fma_f64 v[22:23], v[68:69], s[18:19], v[38:39]
	;; [unrolled: 1-line block ×4, first 2 shown]
	v_add_f64 v[129:130], v[10:11], -v[12:13]
	s_mov_b32 s10, 0x9b97f4a8
	s_mov_b32 s11, 0xbfe9e377
	;; [unrolled: 1-line block ×3, first 2 shown]
	v_fma_f64 v[76:77], v[34:35], s[8:9], v[76:77]
	v_fma_f64 v[109:110], v[32:33], s[8:9], v[115:116]
	;; [unrolled: 1-line block ×4, first 2 shown]
	v_fma_f64 v[32:33], v[117:118], -0.5, v[36:37]
	v_fma_f64 v[34:35], v[119:120], -0.5, v[36:37]
	v_fma_f64 v[80:81], v[84:85], s[20:21], v[102:103]
	v_fma_f64 v[78:79], v[88:89], s[20:21], v[96:97]
	;; [unrolled: 1-line block ×4, first 2 shown]
	s_mov_b32 s22, s10
	v_add_f64 v[70:71], v[70:71], v[82:83]
	v_add_f64 v[24:25], v[24:25], v[86:87]
	;; [unrolled: 1-line block ×4, first 2 shown]
	s_mov_b32 s17, 0xbfd3c6ef
	s_mov_b32 s16, s0
	v_add_f64 v[36:37], v[98:99], v[100:101]
	v_fma_f64 v[6:7], v[68:69], s[8:9], v[6:7]
	v_fma_f64 v[10:11], v[66:67], s[8:9], v[22:23]
	v_fma_f64 v[22:23], v[66:67], s[20:21], v[38:39]
	v_fma_f64 v[4:5], v[68:69], s[20:21], v[4:5]
	v_fma_f64 v[76:77], v[64:65], s[0:1], v[76:77]
	v_fma_f64 v[84:85], v[92:93], s[0:1], v[109:110]
	v_fma_f64 v[30:31], v[92:93], s[0:1], v[30:31]
	v_fma_f64 v[26:27], v[64:65], s[0:1], v[26:27]
	v_fma_f64 v[64:65], v[74:75], s[18:19], v[32:33]
	v_fma_f64 v[32:33], v[74:75], s[2:3], v[32:33]
	v_fma_f64 v[88:89], v[125:126], s[2:3], v[34:35]
	v_fma_f64 v[34:35], v[125:126], s[18:19], v[34:35]
	v_add_f64 v[92:93], v[121:122], v[123:124]
	v_fma_f64 v[28:29], v[14:15], s[0:1], v[78:79]
	v_fma_f64 v[38:39], v[72:73], s[0:1], v[80:81]
	;; [unrolled: 1-line block ×4, first 2 shown]
	v_add_f64 v[96:97], v[127:128], v[129:130]
	v_add_f64 v[70:71], v[70:71], v[90:91]
	;; [unrolled: 1-line block ×5, first 2 shown]
	v_fma_f64 v[20:21], v[2:3], s[0:1], v[6:7]
	v_fma_f64 v[80:81], v[36:37], s[0:1], v[10:11]
	v_fma_f64 v[36:37], v[36:37], s[0:1], v[22:23]
	v_fma_f64 v[82:83], v[2:3], s[0:1], v[4:5]
	v_mul_f64 v[16:17], v[76:77], s[10:11]
	v_mul_f64 v[66:67], v[84:85], s[16:17]
	;; [unrolled: 1-line block ×5, first 2 shown]
	v_fma_f64 v[32:33], v[125:126], s[8:9], v[32:33]
	v_mul_f64 v[30:31], v[30:31], s[2:3]
	v_fma_f64 v[34:35], v[74:75], s[8:9], v[34:35]
	v_fma_f64 v[78:79], v[74:75], s[20:21], v[88:89]
	v_mul_f64 v[74:75], v[84:85], s[2:3]
	v_fma_f64 v[64:65], v[125:126], s[20:21], v[64:65]
	v_mul_f64 v[76:77], v[76:77], s[8:9]
	v_mov_b32_e32 v0, 0x6e
	v_add_f64 v[6:7], v[70:71], v[24:25]
	v_add_f64 v[2:3], v[70:71], -v[24:25]
	v_add_f64 v[4:5], v[8:9], v[12:13]
	v_fma_f64 v[16:17], v[28:29], s[20:21], v[16:17]
	v_fma_f64 v[66:67], v[38:39], s[18:19], v[66:67]
	;; [unrolled: 1-line block ×12, first 2 shown]
	v_mul_u32_u24_sdwa v92, v154, v0 dst_sel:DWORD dst_unused:UNUSED_PAD src0_sel:WORD_0 src1_sel:DWORD
	v_add_f64 v[0:1], v[8:9], -v[12:13]
	v_add_f64 v[26:27], v[20:21], v[16:17]
	v_add_f64 v[30:31], v[80:81], v[66:67]
	v_add_f64 v[18:19], v[36:37], -v[68:69]
	v_add_f64 v[34:35], v[36:37], v[68:69]
	v_add_f64 v[38:39], v[82:83], v[72:73]
	;; [unrolled: 1-line block ×3, first 2 shown]
	v_add_f64 v[10:11], v[20:21], -v[16:17]
	v_add_f64 v[32:33], v[84:85], v[90:91]
	v_add_f64 v[22:23], v[82:83], -v[72:73]
	v_add_f64 v[28:29], v[78:79], v[74:75]
	;; [unrolled: 2-line block ×3, first 2 shown]
	v_add_f64 v[16:17], v[84:85], -v[90:91]
	v_add_f64 v[14:15], v[80:81], -v[66:67]
	v_add_f64 v[12:13], v[78:79], -v[74:75]
	v_add_f64 v[8:9], v[64:65], -v[76:77]
	v_add_nc_u32_e32 v64, v92, v153
	v_lshl_add_u32 v64, v64, 4, v151
	ds_write_b128 v64, v[4:7]
	ds_write_b128 v64, v[0:3] offset:880
	ds_write_b128 v64, v[36:39] offset:176
	;; [unrolled: 1-line block ×9, first 2 shown]
.LBB0_21:
	s_or_b32 exec_lo, exec_lo, s24
	s_waitcnt lgkmcnt(0)
	s_barrier
	buffer_gl0_inv
	ds_read_b128 v[0:3], v152 offset:1760
	ds_read_b128 v[4:7], v152 offset:3520
	;; [unrolled: 1-line block ×6, first 2 shown]
	s_mov_b32 s0, 0x37e14327
	s_mov_b32 s1, 0x3fe948f6
	;; [unrolled: 1-line block ×10, first 2 shown]
	s_waitcnt lgkmcnt(5)
	v_mul_f64 v[24:25], v[46:47], v[2:3]
	v_mul_f64 v[26:27], v[46:47], v[0:1]
	s_waitcnt lgkmcnt(4)
	v_mul_f64 v[28:29], v[42:43], v[6:7]
	v_mul_f64 v[30:31], v[42:43], v[4:5]
	;; [unrolled: 3-line block ×6, first 2 shown]
	v_fma_f64 v[0:1], v[44:45], v[0:1], v[24:25]
	v_fma_f64 v[2:3], v[44:45], v[2:3], -v[26:27]
	v_fma_f64 v[4:5], v[40:41], v[4:5], v[28:29]
	v_fma_f64 v[6:7], v[40:41], v[6:7], -v[30:31]
	;; [unrolled: 2-line block ×6, first 2 shown]
	v_add_f64 v[24:25], v[0:1], v[8:9]
	v_add_f64 v[26:27], v[2:3], v[10:11]
	;; [unrolled: 1-line block ×4, first 2 shown]
	v_add_f64 v[4:5], v[4:5], -v[12:13]
	v_add_f64 v[6:7], v[6:7], -v[14:15]
	v_add_f64 v[32:33], v[16:17], v[20:21]
	v_add_f64 v[34:35], v[18:19], v[22:23]
	v_add_f64 v[12:13], v[20:21], -v[16:17]
	v_add_f64 v[14:15], v[22:23], -v[18:19]
	;; [unrolled: 1-line block ×4, first 2 shown]
	ds_read_b128 v[0:3], v152
	v_add_f64 v[16:17], v[28:29], v[24:25]
	v_add_f64 v[18:19], v[30:31], v[26:27]
	v_add_f64 v[20:21], v[24:25], -v[32:33]
	v_add_f64 v[22:23], v[26:27], -v[34:35]
	v_add_f64 v[36:37], v[32:33], -v[28:29]
	v_add_f64 v[38:39], v[34:35], -v[30:31]
	v_add_f64 v[40:41], v[12:13], -v[4:5]
	v_add_f64 v[42:43], v[14:15], -v[6:7]
	v_add_f64 v[44:45], v[4:5], -v[8:9]
	v_add_f64 v[46:47], v[6:7], -v[10:11]
	v_add_f64 v[24:25], v[28:29], -v[24:25]
	v_add_f64 v[26:27], v[30:31], -v[26:27]
	v_add_f64 v[4:5], v[12:13], v[4:5]
	v_add_f64 v[6:7], v[14:15], v[6:7]
	v_add_f64 v[12:13], v[8:9], -v[12:13]
	v_add_f64 v[14:15], v[10:11], -v[14:15]
	v_add_f64 v[16:17], v[32:33], v[16:17]
	v_add_f64 v[18:19], v[34:35], v[18:19]
	v_mul_f64 v[20:21], v[20:21], s[0:1]
	v_mul_f64 v[22:23], v[22:23], s[0:1]
	s_mov_b32 s0, 0x429ad128
	v_mul_f64 v[28:29], v[36:37], s[2:3]
	v_mul_f64 v[30:31], v[38:39], s[2:3]
	;; [unrolled: 1-line block ×4, first 2 shown]
	s_mov_b32 s1, 0xbfebfeb5
	s_mov_b32 s8, 0xaaaaaaaa
	v_mul_f64 v[40:41], v[44:45], s[0:1]
	v_mul_f64 v[42:43], v[46:47], s[0:1]
	s_mov_b32 s9, 0xbff2aaaa
	v_add_f64 v[4:5], v[4:5], v[8:9]
	v_add_f64 v[6:7], v[6:7], v[10:11]
	s_waitcnt lgkmcnt(0)
	v_add_f64 v[0:1], v[0:1], v[16:17]
	v_add_f64 v[2:3], v[2:3], v[18:19]
	v_fma_f64 v[8:9], v[36:37], s[2:3], v[20:21]
	v_fma_f64 v[10:11], v[38:39], s[2:3], v[22:23]
	v_fma_f64 v[28:29], v[24:25], s[10:11], -v[28:29]
	v_fma_f64 v[30:31], v[26:27], s[10:11], -v[30:31]
	s_mov_b32 s11, 0xbfe77f67
	v_fma_f64 v[36:37], v[12:13], s[16:17], v[32:33]
	v_fma_f64 v[38:39], v[14:15], s[16:17], v[34:35]
	s_mov_b32 s17, 0x3fd5d0dc
	v_fma_f64 v[20:21], v[24:25], s[10:11], -v[20:21]
	v_fma_f64 v[12:13], v[12:13], s[16:17], -v[40:41]
	;; [unrolled: 1-line block ×6, first 2 shown]
	s_mov_b32 s0, 0x37c3f68c
	s_mov_b32 s1, 0xbfdc38aa
	v_fma_f64 v[16:17], v[16:17], s[8:9], v[0:1]
	v_fma_f64 v[18:19], v[18:19], s[8:9], v[2:3]
	;; [unrolled: 1-line block ×8, first 2 shown]
	v_add_f64 v[40:41], v[8:9], v[16:17]
	v_add_f64 v[42:43], v[10:11], v[18:19]
	;; [unrolled: 1-line block ×7, first 2 shown]
	v_add_f64 v[6:7], v[42:43], -v[26:27]
	v_add_f64 v[8:9], v[38:39], v[20:21]
	v_add_f64 v[10:11], v[22:23], -v[36:37]
	v_add_f64 v[12:13], v[16:17], -v[34:35]
	v_add_f64 v[14:15], v[32:33], v[18:19]
	v_add_f64 v[16:17], v[34:35], v[16:17]
	v_add_f64 v[18:19], v[18:19], -v[32:33]
	v_add_f64 v[20:21], v[20:21], -v[38:39]
	v_add_f64 v[22:23], v[36:37], v[22:23]
	v_add_f64 v[24:25], v[40:41], -v[24:25]
	v_add_f64 v[26:27], v[26:27], v[42:43]
	ds_write_b128 v145, v[0:3]
	ds_write_b128 v145, v[4:7] offset:1760
	ds_write_b128 v145, v[8:11] offset:3520
	;; [unrolled: 1-line block ×6, first 2 shown]
	s_waitcnt lgkmcnt(0)
	s_barrier
	buffer_gl0_inv
	s_and_b32 exec_lo, exec_lo, vcc_lo
	s_cbranch_execz .LBB0_23
; %bb.22:
	v_add_co_u32 v32, s0, s14, v150
	v_add_co_ci_u32_e64 v33, null, s15, 0, s0
	s_clause 0x1
	global_load_dwordx4 v[0:3], v150, s[14:15]
	global_load_dwordx4 v[4:7], v150, s[14:15] offset:1120
	v_add_co_u32 v12, vcc_lo, 0x800, v32
	v_add_co_ci_u32_e32 v13, vcc_lo, 0, v33, vcc_lo
	v_add_co_u32 v20, vcc_lo, 0x1000, v32
	v_add_co_ci_u32_e32 v21, vcc_lo, 0, v33, vcc_lo
	;; [unrolled: 2-line block ×4, first 2 shown]
	v_add_co_u32 v40, vcc_lo, 0x2800, v32
	s_clause 0x5
	global_load_dwordx4 v[8:11], v[12:13], off offset:192
	global_load_dwordx4 v[12:15], v[12:13], off offset:1312
	;; [unrolled: 1-line block ×6, first 2 shown]
	v_add_co_ci_u32_e32 v41, vcc_lo, 0, v33, vcc_lo
	s_clause 0x2
	global_load_dwordx4 v[32:35], v[36:37], off offset:768
	global_load_dwordx4 v[36:39], v[36:37], off offset:1888
	;; [unrolled: 1-line block ×3, first 2 shown]
	v_mad_u64_u32 v[44:45], null, s6, v104, 0
	v_mad_u64_u32 v[46:47], null, s4, v149, 0
	s_mul_i32 s2, s5, 0x460
	s_mul_hi_u32 s3, s4, 0x460
	s_mulk_i32 s4, 0x460
	s_add_i32 s3, s3, s2
	s_mov_b32 s0, 0xe6bb82fe
	s_mov_b32 s1, 0x3f554725
	v_mad_u64_u32 v[48:49], null, s7, v104, v[45:46]
	v_mad_u64_u32 v[49:50], null, s5, v149, v[47:48]
	v_mov_b32_e32 v45, v48
	v_lshlrev_b64 v[44:45], 4, v[44:45]
	v_mov_b32_e32 v47, v49
	v_lshlrev_b64 v[46:47], 4, v[46:47]
	v_add_co_u32 v44, vcc_lo, s12, v44
	v_add_co_ci_u32_e32 v45, vcc_lo, s13, v45, vcc_lo
	v_add_co_u32 v88, vcc_lo, v44, v46
	v_add_co_ci_u32_e32 v89, vcc_lo, v45, v47, vcc_lo
	ds_read_b128 v[44:47], v145
	ds_read_b128 v[48:51], v145 offset:1120
	ds_read_b128 v[52:55], v145 offset:2240
	;; [unrolled: 1-line block ×10, first 2 shown]
	v_add_co_u32 v90, vcc_lo, v88, s4
	v_add_co_ci_u32_e32 v91, vcc_lo, s3, v89, vcc_lo
	v_add_co_u32 v92, vcc_lo, v90, s4
	v_add_co_ci_u32_e32 v93, vcc_lo, s3, v91, vcc_lo
	;; [unrolled: 2-line block ×7, first 2 shown]
	s_waitcnt vmcnt(10) lgkmcnt(10)
	v_mul_f64 v[104:105], v[46:47], v[2:3]
	v_mul_f64 v[2:3], v[44:45], v[2:3]
	s_waitcnt vmcnt(9) lgkmcnt(9)
	v_mul_f64 v[106:107], v[50:51], v[6:7]
	v_mul_f64 v[6:7], v[48:49], v[6:7]
	;; [unrolled: 3-line block ×11, first 2 shown]
	v_fma_f64 v[44:45], v[44:45], v[0:1], v[104:105]
	v_fma_f64 v[2:3], v[0:1], v[46:47], -v[2:3]
	v_fma_f64 v[46:47], v[48:49], v[4:5], v[106:107]
	v_fma_f64 v[6:7], v[4:5], v[50:51], -v[6:7]
	;; [unrolled: 2-line block ×11, first 2 shown]
	v_mul_f64 v[0:1], v[44:45], s[0:1]
	v_mul_f64 v[2:3], v[2:3], s[0:1]
	;; [unrolled: 1-line block ×22, first 2 shown]
	v_add_co_u32 v44, vcc_lo, v102, s4
	v_add_co_ci_u32_e32 v45, vcc_lo, s3, v103, vcc_lo
	v_add_co_u32 v46, vcc_lo, v44, s4
	v_add_co_ci_u32_e32 v47, vcc_lo, s3, v45, vcc_lo
	;; [unrolled: 2-line block ×3, first 2 shown]
	global_store_dwordx4 v[88:89], v[0:3], off
	global_store_dwordx4 v[90:91], v[4:7], off
	;; [unrolled: 1-line block ×11, first 2 shown]
.LBB0_23:
	s_endpgm
	.section	.rodata,"a",@progbits
	.p2align	6, 0x0
	.amdhsa_kernel bluestein_single_back_len770_dim1_dp_op_CI_CI
		.amdhsa_group_segment_fixed_size 24640
		.amdhsa_private_segment_fixed_size 0
		.amdhsa_kernarg_size 104
		.amdhsa_user_sgpr_count 6
		.amdhsa_user_sgpr_private_segment_buffer 1
		.amdhsa_user_sgpr_dispatch_ptr 0
		.amdhsa_user_sgpr_queue_ptr 0
		.amdhsa_user_sgpr_kernarg_segment_ptr 1
		.amdhsa_user_sgpr_dispatch_id 0
		.amdhsa_user_sgpr_flat_scratch_init 0
		.amdhsa_user_sgpr_private_segment_size 0
		.amdhsa_wavefront_size32 1
		.amdhsa_uses_dynamic_stack 0
		.amdhsa_system_sgpr_private_segment_wavefront_offset 0
		.amdhsa_system_sgpr_workgroup_id_x 1
		.amdhsa_system_sgpr_workgroup_id_y 0
		.amdhsa_system_sgpr_workgroup_id_z 0
		.amdhsa_system_sgpr_workgroup_info 0
		.amdhsa_system_vgpr_workitem_id 0
		.amdhsa_next_free_vgpr 234
		.amdhsa_next_free_sgpr 42
		.amdhsa_reserve_vcc 1
		.amdhsa_reserve_flat_scratch 0
		.amdhsa_float_round_mode_32 0
		.amdhsa_float_round_mode_16_64 0
		.amdhsa_float_denorm_mode_32 3
		.amdhsa_float_denorm_mode_16_64 3
		.amdhsa_dx10_clamp 1
		.amdhsa_ieee_mode 1
		.amdhsa_fp16_overflow 0
		.amdhsa_workgroup_processor_mode 1
		.amdhsa_memory_ordered 1
		.amdhsa_forward_progress 0
		.amdhsa_shared_vgpr_count 0
		.amdhsa_exception_fp_ieee_invalid_op 0
		.amdhsa_exception_fp_denorm_src 0
		.amdhsa_exception_fp_ieee_div_zero 0
		.amdhsa_exception_fp_ieee_overflow 0
		.amdhsa_exception_fp_ieee_underflow 0
		.amdhsa_exception_fp_ieee_inexact 0
		.amdhsa_exception_int_div_zero 0
	.end_amdhsa_kernel
	.text
.Lfunc_end0:
	.size	bluestein_single_back_len770_dim1_dp_op_CI_CI, .Lfunc_end0-bluestein_single_back_len770_dim1_dp_op_CI_CI
                                        ; -- End function
	.section	.AMDGPU.csdata,"",@progbits
; Kernel info:
; codeLenInByte = 15288
; NumSgprs: 44
; NumVgprs: 234
; ScratchSize: 0
; MemoryBound: 0
; FloatMode: 240
; IeeeMode: 1
; LDSByteSize: 24640 bytes/workgroup (compile time only)
; SGPRBlocks: 5
; VGPRBlocks: 29
; NumSGPRsForWavesPerEU: 44
; NumVGPRsForWavesPerEU: 234
; Occupancy: 4
; WaveLimiterHint : 1
; COMPUTE_PGM_RSRC2:SCRATCH_EN: 0
; COMPUTE_PGM_RSRC2:USER_SGPR: 6
; COMPUTE_PGM_RSRC2:TRAP_HANDLER: 0
; COMPUTE_PGM_RSRC2:TGID_X_EN: 1
; COMPUTE_PGM_RSRC2:TGID_Y_EN: 0
; COMPUTE_PGM_RSRC2:TGID_Z_EN: 0
; COMPUTE_PGM_RSRC2:TIDIG_COMP_CNT: 0
	.text
	.p2alignl 6, 3214868480
	.fill 48, 4, 3214868480
	.type	__hip_cuid_8c83aee6c77037ba,@object ; @__hip_cuid_8c83aee6c77037ba
	.section	.bss,"aw",@nobits
	.globl	__hip_cuid_8c83aee6c77037ba
__hip_cuid_8c83aee6c77037ba:
	.byte	0                               ; 0x0
	.size	__hip_cuid_8c83aee6c77037ba, 1

	.ident	"AMD clang version 19.0.0git (https://github.com/RadeonOpenCompute/llvm-project roc-6.4.0 25133 c7fe45cf4b819c5991fe208aaa96edf142730f1d)"
	.section	".note.GNU-stack","",@progbits
	.addrsig
	.addrsig_sym __hip_cuid_8c83aee6c77037ba
	.amdgpu_metadata
---
amdhsa.kernels:
  - .args:
      - .actual_access:  read_only
        .address_space:  global
        .offset:         0
        .size:           8
        .value_kind:     global_buffer
      - .actual_access:  read_only
        .address_space:  global
        .offset:         8
        .size:           8
        .value_kind:     global_buffer
      - .actual_access:  read_only
        .address_space:  global
        .offset:         16
        .size:           8
        .value_kind:     global_buffer
      - .actual_access:  read_only
        .address_space:  global
        .offset:         24
        .size:           8
        .value_kind:     global_buffer
      - .actual_access:  read_only
        .address_space:  global
        .offset:         32
        .size:           8
        .value_kind:     global_buffer
      - .offset:         40
        .size:           8
        .value_kind:     by_value
      - .address_space:  global
        .offset:         48
        .size:           8
        .value_kind:     global_buffer
      - .address_space:  global
        .offset:         56
        .size:           8
        .value_kind:     global_buffer
      - .address_space:  global
        .offset:         64
        .size:           8
        .value_kind:     global_buffer
      - .address_space:  global
        .offset:         72
        .size:           8
        .value_kind:     global_buffer
      - .offset:         80
        .size:           4
        .value_kind:     by_value
      - .address_space:  global
        .offset:         88
        .size:           8
        .value_kind:     global_buffer
      - .address_space:  global
        .offset:         96
        .size:           8
        .value_kind:     global_buffer
    .group_segment_fixed_size: 24640
    .kernarg_segment_align: 8
    .kernarg_segment_size: 104
    .language:       OpenCL C
    .language_version:
      - 2
      - 0
    .max_flat_workgroup_size: 220
    .name:           bluestein_single_back_len770_dim1_dp_op_CI_CI
    .private_segment_fixed_size: 0
    .sgpr_count:     44
    .sgpr_spill_count: 0
    .symbol:         bluestein_single_back_len770_dim1_dp_op_CI_CI.kd
    .uniform_work_group_size: 1
    .uses_dynamic_stack: false
    .vgpr_count:     234
    .vgpr_spill_count: 0
    .wavefront_size: 32
    .workgroup_processor_mode: 1
amdhsa.target:   amdgcn-amd-amdhsa--gfx1030
amdhsa.version:
  - 1
  - 2
...

	.end_amdgpu_metadata
